;; amdgpu-corpus repo=ROCm/rocFFT kind=compiled arch=gfx950 opt=O3
	.text
	.amdgcn_target "amdgcn-amd-amdhsa--gfx950"
	.amdhsa_code_object_version 6
	.protected	fft_rtc_fwd_len343_factors_7_7_7_wgs_245_tpt_49_sp_op_CI_CI_sbrc_z_xy_aligned ; -- Begin function fft_rtc_fwd_len343_factors_7_7_7_wgs_245_tpt_49_sp_op_CI_CI_sbrc_z_xy_aligned
	.globl	fft_rtc_fwd_len343_factors_7_7_7_wgs_245_tpt_49_sp_op_CI_CI_sbrc_z_xy_aligned
	.p2align	8
	.type	fft_rtc_fwd_len343_factors_7_7_7_wgs_245_tpt_49_sp_op_CI_CI_sbrc_z_xy_aligned,@function
fft_rtc_fwd_len343_factors_7_7_7_wgs_245_tpt_49_sp_op_CI_CI_sbrc_z_xy_aligned: ; @fft_rtc_fwd_len343_factors_7_7_7_wgs_245_tpt_49_sp_op_CI_CI_sbrc_z_xy_aligned
; %bb.0:
	s_load_dwordx8 s[4:11], s[0:1], 0x0
	v_mov_b32_e32 v35, 3
	s_waitcnt lgkmcnt(0)
	s_load_dwordx4 s[12:15], s[8:9], 0x8
	s_load_dwordx4 s[16:19], s[10:11], 0x0
	s_load_dword s22, s[10:11], 0x10
	s_nop 0
	s_load_dwordx2 s[8:9], s[0:1], 0x20
	s_waitcnt lgkmcnt(0)
	s_add_i32 s3, s12, -1
	s_mul_hi_u32 s3, s3, 0xcccccccd
	s_lshr_b32 s3, s3, 2
	s_add_i32 s20, s3, 1
	s_mul_i32 s21, s20, s14
	v_cvt_f32_u32_e32 v2, s21
	v_cvt_f32_u32_e32 v1, s20
	s_sub_i32 s19, 0, s21
	s_load_dwordx4 s[12:15], s[8:9], 0x0
	v_rcp_iflag_f32_e32 v2, v2
	v_rcp_iflag_f32_e32 v1, v1
	s_waitcnt lgkmcnt(0)
	s_load_dword s15, s[8:9], 0x10
	v_mul_f32_e32 v2, 0x4f7ffffe, v2
	v_cvt_u32_f32_e32 v2, v2
	v_mul_f32_e32 v1, 0x4f7ffffe, v1
	v_cvt_u32_f32_e32 v1, v1
	v_readfirstlane_b32 s24, v2
	s_mul_i32 s19, s19, s24
	s_mul_hi_u32 s19, s24, s19
	s_add_i32 s24, s24, s19
	s_mul_hi_u32 s19, s2, s24
	s_mul_i32 s24, s19, s21
	s_sub_i32 s24, s2, s24
	s_add_i32 s25, s19, 1
	s_sub_i32 s26, s24, s21
	s_cmp_ge_u32 s24, s21
	s_cselect_b32 s19, s25, s19
	s_cselect_b32 s24, s26, s24
	s_add_i32 s25, s19, 1
	s_cmp_ge_u32 s24, s21
	v_readfirstlane_b32 s23, v1
	s_cselect_b32 s19, s25, s19
	s_not_b32 s3, s3
	s_mul_i32 s3, s3, s23
	s_mul_i32 s21, s19, s21
	s_mul_hi_u32 s3, s23, s3
	s_sub_i32 s21, s2, s21
	s_add_i32 s23, s23, s3
	s_mul_hi_u32 s3, s21, s23
	s_mul_i32 s24, s3, s20
	s_sub_i32 s21, s21, s24
	s_add_i32 s24, s3, 1
	s_sub_i32 s25, s21, s20
	s_cmp_ge_u32 s21, s20
	s_cselect_b32 s3, s24, s3
	s_cselect_b32 s21, s25, s21
	s_add_i32 s24, s3, 1
	s_cmp_ge_u32 s21, s20
	s_cselect_b32 s30, s24, s3
	s_mul_hi_u32 s3, s2, s23
	s_mul_i32 s3, s3, s20
	s_sub_i32 s2, s2, s3
	s_sub_i32 s3, s2, s20
	s_cmp_ge_u32 s2, s20
	s_cselect_b32 s2, s3, s2
	s_sub_i32 s3, s2, s20
	s_cmp_ge_u32 s2, s20
	s_cselect_b32 s2, s3, s2
	s_mul_i32 s2, s2, 5
	s_mul_i32 s3, s30, s22
	;; [unrolled: 1-line block ×3, first 2 shown]
	s_add_i32 s20, s20, s3
	s_mul_i32 s3, s13, s2
	s_mul_hi_u32 s21, s12, s2
	s_add_i32 s3, s21, s3
	s_lshl_b64 s[6:7], s[6:7], 3
	s_add_u32 s10, s10, s6
	s_addc_u32 s11, s11, s7
	s_load_dwordx2 s[22:23], s[10:11], 0x0
	s_mov_b32 s21, 0
	v_add_u32_e32 v1, 0xf5, v0
	s_mov_b32 s26, 0x3eae86e6
	s_mov_b32 s27, 0xbf08b237
	s_waitcnt lgkmcnt(0)
	s_mul_i32 s10, s23, s19
	s_mul_hi_u32 s11, s22, s19
	s_add_i32 s23, s11, s10
	s_add_u32 s24, s8, s6
	s_addc_u32 s25, s9, s7
	s_load_dwordx2 s[6:7], s[24:25], 0x0
	s_load_dwordx4 s[8:11], s[0:1], 0x58
	s_mul_i32 s22, s22, s19
	s_lshl_b64 s[22:23], s[22:23], 3
	v_mad_u64_u32 v[2:3], s[24:25], s16, v0, 0
	s_waitcnt lgkmcnt(0)
	s_mul_i32 s0, s7, s19
	s_mul_hi_u32 s1, s6, s19
	s_add_i32 s1, s1, s0
	s_add_u32 s0, s8, s22
	v_mov_b32_e32 v4, v3
	s_addc_u32 s7, s9, s23
	s_lshl_b64 s[8:9], s[20:21], 3
	v_mad_u64_u32 v[4:5], s[24:25], s17, v0, v[4:5]
	s_add_u32 s8, s0, s8
	v_mov_b32_e32 v3, v4
	s_addc_u32 s9, s7, s9
	v_lshl_add_u64 v[4:5], v[2:3], 3, s[8:9]
	v_mul_u32_u24_e32 v2, 0x17f, v1
	v_lshrrev_b32_e32 v10, 17, v2
	v_mul_lo_u16_e32 v2, 0x157, v10
	v_sub_u16_e32 v1, v1, v2
	v_mad_u64_u32 v[6:7], s[22:23], s16, v1, 0
	v_mov_b32_e32 v3, 0
	v_mov_b32_e32 v2, v7
	v_mad_u64_u32 v[8:9], s[22:23], s17, v1, v[2:3]
	v_mov_b32_e32 v7, v8
	v_mul_lo_u32 v2, s18, v10
	v_lshl_add_u64 v[6:7], v[6:7], 3, s[8:9]
	v_add_u32_e32 v1, 0x1ea, v0
	v_lshl_add_u64 v[6:7], v[2:3], 3, v[6:7]
	v_mul_u32_u24_e32 v2, 0x2fd, v1
	v_lshrrev_b32_e32 v12, 18, v2
	v_mul_lo_u16_e32 v2, 0x157, v12
	v_sub_u16_e32 v1, v1, v2
	v_mad_u64_u32 v[8:9], s[22:23], s16, v1, 0
	v_mov_b32_e32 v2, v9
	v_mad_u64_u32 v[10:11], s[22:23], s17, v1, v[2:3]
	v_mov_b32_e32 v9, v10
	v_mul_lo_u32 v2, s18, v12
	v_lshl_add_u64 v[8:9], v[8:9], 3, s[8:9]
	v_add_u32_e32 v1, 0x2df, v0
	v_lshl_add_u64 v[8:9], v[2:3], 3, v[8:9]
	v_mul_u32_u24_e32 v2, 0x2fd, v1
	v_lshrrev_b32_e32 v14, 18, v2
	v_mul_lo_u16_e32 v2, 0x157, v14
	v_sub_u16_e32 v1, v1, v2
	v_mad_u64_u32 v[10:11], s[22:23], s16, v1, 0
	v_mov_b32_e32 v2, v11
	v_mad_u64_u32 v[12:13], s[22:23], s17, v1, v[2:3]
	v_mov_b32_e32 v11, v12
	v_mul_lo_u32 v2, s18, v14
	v_lshl_add_u64 v[10:11], v[10:11], 3, s[8:9]
	v_add_u32_e32 v1, 0x3d4, v0
	v_lshl_add_u64 v[10:11], v[2:3], 3, v[10:11]
	v_mul_u32_u24_e32 v2, 0x5f9, v1
	global_load_dwordx2 v[12:13], v[4:5], off
	global_load_dwordx2 v[14:15], v[6:7], off
	;; [unrolled: 1-line block ×4, first 2 shown]
	v_lshrrev_b32_e32 v8, 19, v2
	v_mul_lo_u16_e32 v2, 0x157, v8
	v_sub_u16_e32 v1, v1, v2
	v_mad_u64_u32 v[4:5], s[22:23], s16, v1, 0
	v_mov_b32_e32 v2, v5
	v_mad_u64_u32 v[6:7], s[22:23], s17, v1, v[2:3]
	v_mov_b32_e32 v5, v6
	v_mul_lo_u32 v2, s18, v8
	v_lshl_add_u64 v[4:5], v[4:5], 3, s[8:9]
	v_add_u32_e32 v1, 0x4c9, v0
	v_lshl_add_u64 v[4:5], v[2:3], 3, v[4:5]
	v_mul_u32_u24_e32 v2, 0x5f9, v1
	v_lshrrev_b32_e32 v10, 19, v2
	v_mul_lo_u16_e32 v2, 0x157, v10
	v_sub_u16_e32 v1, v1, v2
	v_mad_u64_u32 v[6:7], s[22:23], s16, v1, 0
	v_mov_b32_e32 v2, v7
	v_mad_u64_u32 v[8:9], s[22:23], s17, v1, v[2:3]
	v_mov_b32_e32 v7, v8
	v_mul_lo_u32 v2, s18, v10
	v_lshl_add_u64 v[6:7], v[6:7], 3, s[8:9]
	v_add_u32_e32 v1, 0x5be, v0
	v_lshl_add_u64 v[6:7], v[2:3], 3, v[6:7]
	v_mul_u32_u24_e32 v2, 0x5f9, v1
	v_lshrrev_b32_e32 v20, 19, v2
	v_mul_lo_u16_e32 v2, 0x157, v20
	v_sub_u16_e32 v1, v1, v2
	v_mad_u64_u32 v[8:9], s[22:23], s16, v1, 0
	v_mov_b32_e32 v2, v9
	v_mad_u64_u32 v[10:11], s[16:17], s17, v1, v[2:3]
	v_mov_b32_e32 v9, v10
	v_mul_lo_u32 v2, s18, v20
	v_lshl_add_u64 v[8:9], v[8:9], 3, s[8:9]
	v_lshl_add_u64 v[8:9], v[2:3], 3, v[8:9]
	global_load_dwordx2 v[10:11], v[4:5], off
	global_load_dwordx2 v[20:21], v[6:7], off
	;; [unrolled: 1-line block ×3, first 2 shown]
	v_mul_u32_u24_e32 v1, 0x53a, v0
	s_mov_b32 s0, 0xcccccccd
	v_add_u32_sdwa v2, s2, v1 dst_sel:DWORD dst_unused:UNUSED_PAD src0_sel:DWORD src1_sel:WORD_1
	v_mul_hi_u32 v4, v2, s0
	v_lshrrev_b32_e32 v4, 2, v4
	v_lshl_add_u32 v4, v4, 2, v4
	v_sub_u32_e32 v2, v2, v4
	v_lshl_add_u32 v4, v0, 3, 0
	v_add_u32_e32 v5, 0xf00, v4
	v_mul_u32_u24_e32 v2, 0x157, v2
	v_lshlrev_b32_e32 v2, 3, v2
	s_mov_b32 s22, 0x3d64c772
	s_mov_b32 s23, 0x3f4a47b2
	;; [unrolled: 1-line block ×10, first 2 shown]
	s_movk_i32 s0, 0x188
	s_mul_i32 s2, s12, s2
	s_lshl_b64 s[2:3], s[2:3], 3
	s_waitcnt vmcnt(5)
	ds_write2_b64 v4, v[12:13], v[14:15] offset1:245
	s_waitcnt vmcnt(3)
	ds_write2_b64 v5, v[16:17], v[18:19] offset0:10 offset1:255
	v_add_u32_e32 v5, 0x1e80, v4
	s_waitcnt vmcnt(1)
	ds_write2_b64 v5, v[10:11], v[20:21] offset0:4 offset1:249
	s_waitcnt vmcnt(0)
	ds_write_b64 v4, v[22:23] offset:11760
	v_mov_b32_e32 v4, 49
	v_mul_lo_u16_sdwa v1, v1, v4 dst_sel:DWORD dst_unused:UNUSED_PAD src0_sel:WORD_1 src1_sel:DWORD
	v_sub_u16_e32 v42, v0, v1
	v_lshlrev_b32_e32 v12, 3, v42
	v_add3_u32 v1, 0, v12, v2
	v_add_u32_e32 v43, 0x400, v1
	s_waitcnt lgkmcnt(0)
	s_barrier
	ds_read2_b64 v[4:7], v1 offset0:49 offset1:98
	ds_read2_b64 v[8:11], v43 offset0:117 offset1:166
	v_add3_u32 v44, 0, v2, v12
	ds_read2_b64 v[12:15], v1 offset0:147 offset1:196
	ds_read_b64 v[16:17], v44
	v_mad_u32_u24 v32, v42, 48, v1
	s_waitcnt lgkmcnt(2)
	v_pk_add_f32 v[18:19], v[4:5], v[10:11]
	v_pk_add_f32 v[20:21], v[4:5], v[10:11] neg_lo:[0,1] neg_hi:[0,1]
	v_pk_add_f32 v[22:23], v[6:7], v[8:9]
	v_pk_add_f32 v[24:25], v[6:7], v[8:9] neg_lo:[0,1] neg_hi:[0,1]
	s_waitcnt lgkmcnt(1)
	v_mov_b32_e32 v6, v12
	v_mov_b32_e32 v8, v14
	;; [unrolled: 1-line block ×4, first 2 shown]
	v_pk_add_f32 v[6:7], v[6:7], v[8:9]
	v_pk_add_f32 v[4:5], v[4:5], v[10:11]
	v_pk_add_f32 v[8:9], v[14:15], v[12:13] neg_lo:[0,1] neg_hi:[0,1]
	v_mov_b32_e32 v23, v7
	v_mov_b32_e32 v18, v4
	;; [unrolled: 1-line block ×6, first 2 shown]
	v_pk_add_f32 v[10:11], v[22:23], v[18:19]
	v_pk_add_f32 v[12:13], v[12:13], v[14:15] neg_lo:[0,1] neg_hi:[0,1]
	v_pk_add_f32 v[14:15], v[4:5], v[6:7] neg_lo:[0,1] neg_hi:[0,1]
	v_mov_b32_e32 v28, v9
	v_mov_b32_e32 v29, v20
	;; [unrolled: 1-line block ×5, first 2 shown]
	v_pk_add_f32 v[26:27], v[8:9], v[24:25]
	v_pk_add_f32 v[28:29], v[28:29], v[30:31] neg_lo:[0,1] neg_hi:[0,1]
	v_mov_b32_e32 v30, v21
	v_mov_b32_e32 v8, v9
	;; [unrolled: 1-line block ×3, first 2 shown]
	v_pk_add_f32 v[4:5], v[6:7], v[10:11]
	v_pk_add_f32 v[8:9], v[30:31], v[8:9] neg_lo:[0,1] neg_hi:[0,1]
	v_pk_add_f32 v[6:7], v[26:27], v[20:21]
	s_waitcnt lgkmcnt(0)
	v_pk_add_f32 v[10:11], v[4:5], v[16:17]
	v_pk_mul_f32 v[12:13], v[12:13], s[22:23]
	v_pk_mul_f32 v[28:29], v[28:29], s[28:29]
	;; [unrolled: 1-line block ×3, first 2 shown]
	v_pk_mul_f32 v[26:27], v[6:7], s[8:9] op_sel_hi:[1,0]
	v_pk_mul_f32 v[30:31], v[8:9], s[26:27]
	v_pk_fma_f32 v[4:5], v[4:5], s[16:17], v[10:11] op_sel_hi:[1,0,1] neg_lo:[1,0,0] neg_hi:[1,0,0]
	v_pk_fma_f32 v[14:15], v[14:15], s[24:25], v[12:13]
	v_pk_fma_f32 v[8:9], v[8:9], s[26:27], v[28:29]
	v_pk_add_f32 v[14:15], v[14:15], v[4:5]
	v_pk_add_f32 v[8:9], v[26:27], v[8:9] op_sel:[1,0] op_sel_hi:[0,1]
	s_barrier
	ds_write_b64 v32, v[10:11]
	v_pk_add_f32 v[10:11], v[22:23], v[18:19] neg_lo:[0,1] neg_hi:[0,1]
	v_mov_b32_e32 v18, v16
	v_mov_b32_e32 v19, v13
	;; [unrolled: 1-line block ×3, first 2 shown]
	v_pk_add_f32 v[26:27], v[14:15], v[8:9]
	v_pk_add_f32 v[8:9], v[14:15], v[8:9] neg_lo:[0,1] neg_hi:[0,1]
	v_pk_add_f32 v[14:15], v[24:25], v[20:21] neg_lo:[0,1] neg_hi:[0,1]
	v_pk_fma_f32 v[18:19], v[10:11], s[20:21], v[18:19] op_sel_hi:[1,0,1] neg_lo:[1,0,1] neg_hi:[1,0,1]
	v_mov_b32_e32 v20, v29
	v_mov_b32_e32 v21, v30
	v_pk_fma_f32 v[10:11], v[10:11], s[20:21], v[12:13] op_sel_hi:[1,0,1] neg_lo:[0,0,1] neg_hi:[0,0,1]
	v_mov_b32_e32 v12, v31
	v_mov_b32_e32 v13, v28
	v_pk_fma_f32 v[20:21], v[14:15], s[18:19], v[20:21] op_sel_hi:[1,0,1] neg_lo:[1,0,1] neg_hi:[1,0,1]
	v_pk_fma_f32 v[12:13], v[14:15], s[18:19], v[12:13] op_sel_hi:[1,0,1] neg_lo:[0,0,1] neg_hi:[0,0,1]
	v_pk_add_f32 v[18:19], v[18:19], v[4:5]
	v_pk_fma_f32 v[20:21], v[6:7], s[8:9], v[20:21] op_sel_hi:[1,0,1]
	v_pk_add_f32 v[4:5], v[10:11], v[4:5]
	v_pk_fma_f32 v[6:7], v[6:7], s[8:9], v[12:13] op_sel_hi:[1,0,1]
	v_pk_add_f32 v[22:23], v[18:19], v[20:21] op_sel:[0,1] op_sel_hi:[1,0]
	v_pk_add_f32 v[10:11], v[4:5], v[6:7] op_sel:[0,1] op_sel_hi:[1,0] neg_lo:[0,1] neg_hi:[0,1]
	v_pk_add_f32 v[4:5], v[4:5], v[6:7] op_sel:[0,1] op_sel_hi:[1,0]
	v_mov_b32_e32 v6, v10
	v_mov_b32_e32 v7, v5
	;; [unrolled: 1-line block ×3, first 2 shown]
	ds_write2_b64 v32, v[6:7], v[4:5] offset0:3 offset1:4
	v_mov_b32_e32 v4, 37
	v_mul_lo_u16_sdwa v4, v42, v4 dst_sel:DWORD dst_unused:UNUSED_PAD src0_sel:BYTE_0 src1_sel:DWORD
	v_sub_u16_sdwa v5, v42, v4 dst_sel:DWORD dst_unused:UNUSED_PAD src0_sel:DWORD src1_sel:BYTE_1
	v_lshrrev_b16_e32 v5, 1, v5
	v_pk_add_f32 v[18:19], v[18:19], v[20:21] op_sel:[0,1] op_sel_hi:[1,0] neg_lo:[0,1] neg_hi:[0,1]
	v_and_b32_e32 v5, 0x7f, v5
	v_mov_b32_e32 v20, v26
	v_mov_b32_e32 v21, v9
	;; [unrolled: 1-line block ×6, first 2 shown]
	v_add_u16_sdwa v4, v5, v4 dst_sel:DWORD dst_unused:UNUSED_PAD src0_sel:DWORD src1_sel:BYTE_1
	ds_write2_b64 v32, v[20:21], v[24:25] offset0:1 offset1:2
	ds_write2_b64 v32, v[18:19], v[8:9] offset0:5 offset1:6
	v_lshrrev_b16_e32 v32, 2, v4
	v_mul_lo_u16_e32 v4, 7, v32
	v_sub_u16_e32 v34, v42, v4
	v_mov_b32_e32 v4, 6
	v_mul_u32_u24_sdwa v4, v34, v4 dst_sel:DWORD dst_unused:UNUSED_PAD src0_sel:BYTE_0 src1_sel:DWORD
	v_lshlrev_b32_e32 v16, 3, v4
	s_waitcnt lgkmcnt(0)
	s_barrier
	global_load_dwordx4 v[4:7], v16, s[4:5]
	global_load_dwordx4 v[8:11], v16, s[4:5] offset:16
	global_load_dwordx4 v[12:15], v16, s[4:5] offset:32
	ds_read_b64 v[28:29], v44
	ds_read2_b64 v[16:19], v43 offset0:117 offset1:166
	ds_read2_b64 v[20:23], v1 offset0:49 offset1:98
	;; [unrolled: 1-line block ×3, first 2 shown]
	v_mad_u32_u24 v32, v32, s0, 0
	v_lshlrev_b32_sdwa v34, v35, v34 dst_sel:DWORD dst_unused:UNUSED_PAD src0_sel:DWORD src1_sel:BYTE_0
	v_add3_u32 v45, v32, v34, v2
	s_waitcnt lgkmcnt(1)
	v_mov_b32_e32 v38, v22
	s_waitcnt lgkmcnt(0)
	v_mov_b32_e32 v39, v24
	v_mov_b32_e32 v34, v21
	;; [unrolled: 1-line block ×7, first 2 shown]
	s_barrier
	s_mul_i32 s0, s6, s19
	s_waitcnt vmcnt(2)
	v_mov_b32_e32 v30, v7
	s_waitcnt vmcnt(1)
	v_mov_b32_e32 v31, v8
	v_mul_f32_e32 v2, v7, v23
	v_fma_f32 v7, v6, v22, -v2
	v_pk_mul_f32 v[30:31], v[30:31], v[38:39]
	v_mov_b32_e32 v2, v9
	v_mov_b32_e32 v38, v9
	;; [unrolled: 1-line block ×4, first 2 shown]
	s_waitcnt vmcnt(0)
	v_mul_f32_e32 v33, v13, v17
	v_mul_f32_e32 v20, v5, v20
	v_pk_fma_f32 v[24:25], v[2:3], v[24:25], v[30:31] op_sel:[0,1,1] op_sel_hi:[1,1,0] neg_lo:[1,0,0] neg_hi:[1,0,0]
	v_pk_fma_f32 v[22:23], v[38:39], v[22:23], v[30:31] op_sel:[0,0,1] op_sel_hi:[1,1,0]
	v_mov_b32_e32 v31, v8
	v_mov_b32_e32 v8, v5
	v_fma_f32 v33, v12, v16, -v33
	v_fmac_f32_e32 v20, v4, v21
	v_mov_b32_e32 v30, v4
	v_pk_mul_f32 v[4:5], v[8:9], v[34:35]
	v_mov_b32_e32 v35, v12
	v_mov_b32_e32 v12, v11
	v_pk_mul_f32 v[12:13], v[12:13], v[40:41]
	v_pk_fma_f32 v[8:9], v[30:31], v[36:37], v[4:5] neg_lo:[0,0,1] neg_hi:[0,0,1]
	v_pk_fma_f32 v[4:5], v[30:31], v[36:37], v[4:5]
	v_mov_b32_e32 v30, v19
	v_mov_b32_e32 v31, v26
	;; [unrolled: 1-line block ×6, first 2 shown]
	v_pk_fma_f32 v[16:17], v[10:11], v[26:27], v[12:13] op_sel_hi:[1,0,1] neg_lo:[0,0,1] neg_hi:[0,0,1]
	v_mov_b32_e32 v27, v10
	v_mov_b32_e32 v10, v15
	;; [unrolled: 1-line block ×3, first 2 shown]
	v_pk_fma_f32 v[12:13], v[34:35], v[36:37], v[12:13]
	v_mov_b32_e32 v26, v14
	v_pk_mul_f32 v[10:11], v[10:11], v[30:31]
	v_mov_b32_e32 v25, v23
	v_mov_b32_e32 v17, v13
	v_pk_fma_f32 v[30:31], v[26:27], v[38:39], v[10:11] neg_lo:[0,0,1] neg_hi:[0,0,1]
	v_pk_fma_f32 v[10:11], v[26:27], v[38:39], v[10:11]
	v_mul_f32_e32 v18, v15, v18
	v_mov_b32_e32 v31, v11
	v_fmac_f32_e32 v18, v14, v19
	v_mov_b32_e32 v21, v8
	v_mov_b32_e32 v19, v30
	;; [unrolled: 1-line block ×4, first 2 shown]
	v_pk_add_f32 v[12:13], v[24:25], v[16:17]
	v_mov_b32_e32 v10, v11
	v_mov_b32_e32 v11, v16
	;; [unrolled: 1-line block ×5, first 2 shown]
	v_add_f32_e32 v15, v20, v18
	v_pk_add_f32 v[18:19], v[20:21], v[18:19] neg_lo:[0,1] neg_hi:[0,1]
	v_add_f32_e32 v4, v7, v33
	v_pk_add_f32 v[6:7], v[6:7], v[32:33] neg_lo:[0,1] neg_hi:[0,1]
	v_pk_add_f32 v[10:11], v[10:11], v[16:17] neg_lo:[0,1] neg_hi:[0,1]
	v_pk_add_f32 v[8:9], v[8:9], v[30:31]
	v_mov_b32_e32 v30, v10
	v_mov_b32_e32 v31, v19
	;; [unrolled: 1-line block ×4, first 2 shown]
	v_add_f32_e32 v16, v4, v8
	v_add_f32_e32 v21, v13, v15
	v_mov_b32_e32 v14, v12
	v_mov_b32_e32 v5, v9
	v_pk_add_f32 v[26:27], v[10:11], v[6:7]
	v_pk_add_f32 v[30:31], v[30:31], v[32:33] neg_lo:[0,1] neg_hi:[0,1]
	v_mov_b32_e32 v32, v18
	v_mov_b32_e32 v11, v7
	;; [unrolled: 1-line block ×4, first 2 shown]
	v_pk_add_f32 v[22:23], v[14:15], v[4:5] neg_lo:[0,1] neg_hi:[0,1]
	v_pk_add_f32 v[24:25], v[8:9], v[12:13] neg_lo:[0,1] neg_hi:[0,1]
	;; [unrolled: 1-line block ×3, first 2 shown]
	v_pk_add_f32 v[16:17], v[16:17], v[20:21]
	v_pk_add_f32 v[20:21], v[26:27], v[18:19]
	;; [unrolled: 1-line block ×3, first 2 shown]
	v_pk_mul_f32 v[22:23], v[22:23], s[22:23]
	v_pk_mul_f32 v[28:29], v[24:25], s[24:25]
	;; [unrolled: 1-line block ×4, first 2 shown]
	v_mov_b32_e32 v5, v13
	v_mov_b32_e32 v9, v15
	v_pk_fma_f32 v[24:25], v[24:25], s[24:25], v[22:23]
	v_pk_fma_f32 v[10:11], v[10:11], s[26:27], v[30:31]
	v_pk_add_f32 v[4:5], v[4:5], v[8:9] neg_lo:[0,1] neg_hi:[0,1]
	v_pk_add_f32 v[6:7], v[6:7], v[18:19] neg_lo:[0,1] neg_hi:[0,1]
	v_mov_b32_e32 v8, v28
	v_mov_b32_e32 v9, v23
	;; [unrolled: 1-line block ×6, first 2 shown]
	v_pk_fma_f32 v[16:17], v[16:17], s[16:17], v[26:27] op_sel_hi:[1,0,1] neg_lo:[1,0,0] neg_hi:[1,0,0]
	v_pk_fma_f32 v[8:9], v[4:5], s[20:21], v[8:9] op_sel_hi:[1,0,1] neg_lo:[1,0,1] neg_hi:[1,0,1]
	;; [unrolled: 1-line block ×5, first 2 shown]
	v_pk_add_f32 v[24:25], v[24:25], v[16:17]
	v_pk_fma_f32 v[10:11], v[20:21], s[8:9], v[10:11] op_sel_hi:[1,0,1]
	v_pk_add_f32 v[8:9], v[8:9], v[16:17]
	v_pk_fma_f32 v[12:13], v[20:21], s[8:9], v[12:13] op_sel_hi:[1,0,1]
	;; [unrolled: 2-line block ×3, first 2 shown]
	v_pk_add_f32 v[34:35], v[24:25], v[10:11]
	v_pk_add_f32 v[10:11], v[24:25], v[10:11] neg_lo:[0,1] neg_hi:[0,1]
	v_pk_add_f32 v[14:15], v[8:9], v[12:13]
	v_pk_add_f32 v[8:9], v[8:9], v[12:13] neg_lo:[0,1] neg_hi:[0,1]
	v_pk_add_f32 v[16:17], v[4:5], v[6:7] neg_lo:[0,1] neg_hi:[0,1]
	v_pk_add_f32 v[4:5], v[4:5], v[6:7]
	v_mul_u32_u24_e32 v2, 6, v42
	v_mov_b32_e32 v24, v34
	v_mov_b32_e32 v25, v11
	v_mov_b32_e32 v12, v14
	v_mov_b32_e32 v13, v9
	v_mov_b32_e32 v6, v16
	v_mov_b32_e32 v7, v5
	v_mov_b32_e32 v5, v17
	v_mov_b32_e32 v9, v15
	v_mov_b32_e32 v11, v35
	v_lshlrev_b32_e32 v2, 3, v2
	ds_write2_b64 v45, v[26:27], v[24:25] offset1:7
	ds_write2_b64 v45, v[12:13], v[6:7] offset0:14 offset1:21
	ds_write2_b64 v45, v[4:5], v[8:9] offset0:28 offset1:35
	ds_write_b64 v45, v[10:11] offset:336
	s_waitcnt lgkmcnt(0)
	s_barrier
	global_load_dwordx4 v[4:7], v2, s[4:5] offset:336
	global_load_dwordx4 v[8:11], v2, s[4:5] offset:352
	global_load_dwordx4 v[12:15], v2, s[4:5] offset:368
	ds_read_b64 v[28:29], v44
	ds_read2_b64 v[16:19], v43 offset0:117 offset1:166
	ds_read2_b64 v[20:23], v1 offset0:49 offset1:98
	;; [unrolled: 1-line block ×3, first 2 shown]
	s_waitcnt lgkmcnt(0)
	s_barrier
	v_mov_b32_e32 v41, v16
	v_mov_b32_e32 v38, v22
	;; [unrolled: 1-line block ×8, first 2 shown]
	s_mul_i32 s4, s30, s14
	s_mov_b32 s5, s21
	s_waitcnt vmcnt(2)
	v_mov_b32_e32 v30, v7
	s_waitcnt vmcnt(1)
	v_mov_b32_e32 v31, v8
	s_waitcnt vmcnt(0)
	v_mul_f32_e32 v2, v13, v17
	v_fma_f32 v33, v12, v16, -v2
	v_mul_f32_e32 v2, v7, v23
	v_fma_f32 v7, v6, v22, -v2
	v_pk_mul_f32 v[30:31], v[30:31], v[38:39]
	v_mov_b32_e32 v2, v9
	v_mov_b32_e32 v38, v9
	;; [unrolled: 1-line block ×4, first 2 shown]
	v_mul_f32_e32 v20, v5, v20
	v_pk_fma_f32 v[24:25], v[2:3], v[24:25], v[30:31] op_sel:[0,1,1] op_sel_hi:[1,1,0] neg_lo:[1,0,0] neg_hi:[1,0,0]
	v_pk_fma_f32 v[22:23], v[38:39], v[22:23], v[30:31] op_sel:[0,0,1] op_sel_hi:[1,1,0]
	v_mov_b32_e32 v31, v8
	v_mov_b32_e32 v8, v5
	v_fmac_f32_e32 v20, v4, v21
	v_mov_b32_e32 v30, v4
	v_pk_mul_f32 v[4:5], v[8:9], v[34:35]
	v_mov_b32_e32 v35, v12
	v_mov_b32_e32 v12, v11
	v_pk_mul_f32 v[12:13], v[12:13], v[40:41]
	v_pk_fma_f32 v[8:9], v[30:31], v[36:37], v[4:5] neg_lo:[0,0,1] neg_hi:[0,0,1]
	v_pk_fma_f32 v[4:5], v[30:31], v[36:37], v[4:5]
	v_mov_b32_e32 v30, v19
	v_mov_b32_e32 v31, v26
	;; [unrolled: 1-line block ×6, first 2 shown]
	v_pk_fma_f32 v[16:17], v[10:11], v[26:27], v[12:13] op_sel_hi:[1,0,1] neg_lo:[0,0,1] neg_hi:[0,0,1]
	v_mov_b32_e32 v27, v10
	v_mov_b32_e32 v10, v15
	;; [unrolled: 1-line block ×3, first 2 shown]
	v_pk_fma_f32 v[12:13], v[34:35], v[36:37], v[12:13]
	v_mov_b32_e32 v26, v14
	v_pk_mul_f32 v[10:11], v[10:11], v[30:31]
	v_mov_b32_e32 v25, v23
	v_mov_b32_e32 v17, v13
	v_pk_fma_f32 v[30:31], v[26:27], v[38:39], v[10:11] neg_lo:[0,0,1] neg_hi:[0,0,1]
	v_pk_fma_f32 v[10:11], v[26:27], v[38:39], v[10:11]
	v_mul_f32_e32 v18, v15, v18
	v_mov_b32_e32 v31, v11
	v_fmac_f32_e32 v18, v14, v19
	v_mov_b32_e32 v21, v8
	v_mov_b32_e32 v19, v30
	;; [unrolled: 1-line block ×4, first 2 shown]
	v_pk_add_f32 v[12:13], v[24:25], v[16:17]
	v_mov_b32_e32 v10, v11
	v_mov_b32_e32 v11, v16
	;; [unrolled: 1-line block ×5, first 2 shown]
	v_add_f32_e32 v15, v20, v18
	v_pk_add_f32 v[18:19], v[20:21], v[18:19] neg_lo:[0,1] neg_hi:[0,1]
	v_add_f32_e32 v4, v7, v33
	v_pk_add_f32 v[6:7], v[6:7], v[32:33] neg_lo:[0,1] neg_hi:[0,1]
	v_pk_add_f32 v[10:11], v[10:11], v[16:17] neg_lo:[0,1] neg_hi:[0,1]
	v_pk_add_f32 v[8:9], v[8:9], v[30:31]
	v_mov_b32_e32 v30, v10
	v_mov_b32_e32 v31, v19
	v_mov_b32_e32 v32, v6
	v_mov_b32_e32 v33, v11
	v_add_f32_e32 v16, v4, v8
	v_add_f32_e32 v21, v13, v15
	v_mov_b32_e32 v14, v12
	v_mov_b32_e32 v5, v9
	v_pk_add_f32 v[26:27], v[10:11], v[6:7]
	v_pk_add_f32 v[30:31], v[30:31], v[32:33] neg_lo:[0,1] neg_hi:[0,1]
	v_mov_b32_e32 v32, v18
	v_mov_b32_e32 v11, v7
	;; [unrolled: 1-line block ×4, first 2 shown]
	v_pk_add_f32 v[22:23], v[14:15], v[4:5] neg_lo:[0,1] neg_hi:[0,1]
	v_pk_add_f32 v[24:25], v[8:9], v[12:13] neg_lo:[0,1] neg_hi:[0,1]
	;; [unrolled: 1-line block ×3, first 2 shown]
	v_pk_add_f32 v[16:17], v[16:17], v[20:21]
	v_pk_add_f32 v[20:21], v[26:27], v[18:19]
	;; [unrolled: 1-line block ×3, first 2 shown]
	v_pk_mul_f32 v[22:23], v[22:23], s[22:23]
	v_pk_mul_f32 v[28:29], v[24:25], s[24:25]
	;; [unrolled: 1-line block ×4, first 2 shown]
	v_mov_b32_e32 v5, v13
	v_mov_b32_e32 v9, v15
	v_pk_fma_f32 v[24:25], v[24:25], s[24:25], v[22:23]
	v_pk_fma_f32 v[10:11], v[10:11], s[26:27], v[30:31]
	v_pk_add_f32 v[4:5], v[4:5], v[8:9] neg_lo:[0,1] neg_hi:[0,1]
	v_pk_add_f32 v[6:7], v[6:7], v[18:19] neg_lo:[0,1] neg_hi:[0,1]
	v_mov_b32_e32 v8, v28
	v_mov_b32_e32 v9, v23
	;; [unrolled: 1-line block ×6, first 2 shown]
	v_pk_fma_f32 v[16:17], v[16:17], s[16:17], v[26:27] op_sel_hi:[1,0,1] neg_lo:[1,0,0] neg_hi:[1,0,0]
	v_pk_fma_f32 v[8:9], v[4:5], s[20:21], v[8:9] op_sel_hi:[1,0,1] neg_lo:[1,0,1] neg_hi:[1,0,1]
	;; [unrolled: 1-line block ×5, first 2 shown]
	v_pk_add_f32 v[24:25], v[24:25], v[16:17]
	v_pk_fma_f32 v[10:11], v[20:21], s[8:9], v[10:11] op_sel_hi:[1,0,1]
	v_pk_add_f32 v[8:9], v[8:9], v[16:17]
	v_pk_fma_f32 v[12:13], v[20:21], s[8:9], v[12:13] op_sel_hi:[1,0,1]
	;; [unrolled: 2-line block ×3, first 2 shown]
	v_pk_add_f32 v[34:35], v[24:25], v[10:11]
	v_pk_add_f32 v[10:11], v[24:25], v[10:11] neg_lo:[0,1] neg_hi:[0,1]
	v_pk_add_f32 v[14:15], v[8:9], v[12:13]
	v_pk_add_f32 v[8:9], v[8:9], v[12:13] neg_lo:[0,1] neg_hi:[0,1]
	v_pk_add_f32 v[16:17], v[4:5], v[6:7] neg_lo:[0,1] neg_hi:[0,1]
	v_pk_add_f32 v[4:5], v[4:5], v[6:7]
	v_mov_b32_e32 v24, v34
	v_mov_b32_e32 v25, v11
	v_mov_b32_e32 v12, v14
	v_mov_b32_e32 v13, v9
	v_mov_b32_e32 v6, v16
	v_mov_b32_e32 v7, v5
	v_mov_b32_e32 v5, v17
	v_mov_b32_e32 v9, v15
	v_mov_b32_e32 v11, v35
	ds_write2_b64 v1, v[26:27], v[24:25] offset1:49
	ds_write2_b64 v1, v[12:13], v[6:7] offset0:98 offset1:147
	ds_write2_b64 v1, v[4:5], v[8:9] offset0:196 offset1:245
	ds_write_b64 v1, v[10:11] offset:2352
	v_mul_u32_u24_e32 v1, 0x3334, v0
	v_lshrrev_b32_e32 v6, 16, v1
	v_mul_lo_u16_e32 v1, 5, v6
	v_sub_u16_e32 v7, v0, v1
	v_mad_u64_u32 v[0:1], s[6:7], s12, v7, 0
	v_mov_b32_e32 v2, v1
	v_mad_u64_u32 v[4:5], s[6:7], s13, v7, v[2:3]
	v_mov_b32_e32 v1, v4
	v_mul_lo_u16_e32 v4, 0x157, v7
	s_add_u32 s6, s10, s2
	v_lshlrev_b32_e32 v4, 3, v4
	v_lshlrev_b32_e32 v5, 3, v6
	s_addc_u32 s7, s11, s3
	s_lshl_b64 s[2:3], s[4:5], 3
	v_mul_lo_u32 v2, s15, v6
	v_add3_u32 v6, 0, v4, v5
	s_add_u32 s2, s6, s2
	s_waitcnt lgkmcnt(0)
	s_barrier
	s_addc_u32 s3, s7, s3
	s_lshl_b64 s[0:1], s[0:1], 3
	ds_read_b64 v[8:9], v6
	v_add3_u32 v12, 0, v5, v4
	s_add_u32 s0, s2, s0
	ds_read2_b64 v[4:7], v12 offset0:49 offset1:98
	s_addc_u32 s1, s3, s1
	v_lshl_add_u64 v[0:1], v[0:1], 3, s[0:1]
	s_mul_i32 s15, s15, 49
	v_lshl_add_u64 v[10:11], v[2:3], 3, v[0:1]
	v_add_u32_e32 v2, s15, v2
	s_waitcnt lgkmcnt(1)
	global_store_dwordx2 v[10:11], v[8:9], off
	v_lshl_add_u64 v[8:9], v[2:3], 3, v[0:1]
	s_waitcnt lgkmcnt(0)
	global_store_dwordx2 v[8:9], v[4:5], off
	ds_read2_b64 v[8:11], v12 offset0:147 offset1:196
	v_add_u32_e32 v2, s15, v2
	v_lshl_add_u64 v[4:5], v[2:3], 3, v[0:1]
	v_add_u32_e32 v2, s15, v2
	global_store_dwordx2 v[4:5], v[6:7], off
	v_lshl_add_u64 v[4:5], v[2:3], 3, v[0:1]
	s_waitcnt lgkmcnt(0)
	global_store_dwordx2 v[4:5], v[8:9], off
	v_add_u32_e32 v4, 0x400, v12
	ds_read2_b64 v[4:7], v4 offset0:117 offset1:166
	v_add_u32_e32 v2, s15, v2
	v_lshl_add_u64 v[8:9], v[2:3], 3, v[0:1]
	v_add_u32_e32 v2, s15, v2
	global_store_dwordx2 v[8:9], v[10:11], off
	v_lshl_add_u64 v[8:9], v[2:3], 3, v[0:1]
	v_add_u32_e32 v2, s15, v2
	v_lshl_add_u64 v[0:1], v[2:3], 3, v[0:1]
	s_waitcnt lgkmcnt(0)
	global_store_dwordx2 v[8:9], v[4:5], off
	global_store_dwordx2 v[0:1], v[6:7], off
	s_endpgm
	.section	.rodata,"a",@progbits
	.p2align	6, 0x0
	.amdhsa_kernel fft_rtc_fwd_len343_factors_7_7_7_wgs_245_tpt_49_sp_op_CI_CI_sbrc_z_xy_aligned
		.amdhsa_group_segment_fixed_size 0
		.amdhsa_private_segment_fixed_size 0
		.amdhsa_kernarg_size 104
		.amdhsa_user_sgpr_count 2
		.amdhsa_user_sgpr_dispatch_ptr 0
		.amdhsa_user_sgpr_queue_ptr 0
		.amdhsa_user_sgpr_kernarg_segment_ptr 1
		.amdhsa_user_sgpr_dispatch_id 0
		.amdhsa_user_sgpr_kernarg_preload_length 0
		.amdhsa_user_sgpr_kernarg_preload_offset 0
		.amdhsa_user_sgpr_private_segment_size 0
		.amdhsa_uses_dynamic_stack 0
		.amdhsa_enable_private_segment 0
		.amdhsa_system_sgpr_workgroup_id_x 1
		.amdhsa_system_sgpr_workgroup_id_y 0
		.amdhsa_system_sgpr_workgroup_id_z 0
		.amdhsa_system_sgpr_workgroup_info 0
		.amdhsa_system_vgpr_workitem_id 0
		.amdhsa_next_free_vgpr 46
		.amdhsa_next_free_sgpr 31
		.amdhsa_accum_offset 48
		.amdhsa_reserve_vcc 0
		.amdhsa_float_round_mode_32 0
		.amdhsa_float_round_mode_16_64 0
		.amdhsa_float_denorm_mode_32 3
		.amdhsa_float_denorm_mode_16_64 3
		.amdhsa_dx10_clamp 1
		.amdhsa_ieee_mode 1
		.amdhsa_fp16_overflow 0
		.amdhsa_tg_split 0
		.amdhsa_exception_fp_ieee_invalid_op 0
		.amdhsa_exception_fp_denorm_src 0
		.amdhsa_exception_fp_ieee_div_zero 0
		.amdhsa_exception_fp_ieee_overflow 0
		.amdhsa_exception_fp_ieee_underflow 0
		.amdhsa_exception_fp_ieee_inexact 0
		.amdhsa_exception_int_div_zero 0
	.end_amdhsa_kernel
	.text
.Lfunc_end0:
	.size	fft_rtc_fwd_len343_factors_7_7_7_wgs_245_tpt_49_sp_op_CI_CI_sbrc_z_xy_aligned, .Lfunc_end0-fft_rtc_fwd_len343_factors_7_7_7_wgs_245_tpt_49_sp_op_CI_CI_sbrc_z_xy_aligned
                                        ; -- End function
	.section	.AMDGPU.csdata,"",@progbits
; Kernel info:
; codeLenInByte = 3992
; NumSgprs: 37
; NumVgprs: 46
; NumAgprs: 0
; TotalNumVgprs: 46
; ScratchSize: 0
; MemoryBound: 0
; FloatMode: 240
; IeeeMode: 1
; LDSByteSize: 0 bytes/workgroup (compile time only)
; SGPRBlocks: 4
; VGPRBlocks: 5
; NumSGPRsForWavesPerEU: 37
; NumVGPRsForWavesPerEU: 46
; AccumOffset: 48
; Occupancy: 8
; WaveLimiterHint : 1
; COMPUTE_PGM_RSRC2:SCRATCH_EN: 0
; COMPUTE_PGM_RSRC2:USER_SGPR: 2
; COMPUTE_PGM_RSRC2:TRAP_HANDLER: 0
; COMPUTE_PGM_RSRC2:TGID_X_EN: 1
; COMPUTE_PGM_RSRC2:TGID_Y_EN: 0
; COMPUTE_PGM_RSRC2:TGID_Z_EN: 0
; COMPUTE_PGM_RSRC2:TIDIG_COMP_CNT: 0
; COMPUTE_PGM_RSRC3_GFX90A:ACCUM_OFFSET: 11
; COMPUTE_PGM_RSRC3_GFX90A:TG_SPLIT: 0
	.text
	.p2alignl 6, 3212836864
	.fill 256, 4, 3212836864
	.type	__hip_cuid_8d6902352b908aad,@object ; @__hip_cuid_8d6902352b908aad
	.section	.bss,"aw",@nobits
	.globl	__hip_cuid_8d6902352b908aad
__hip_cuid_8d6902352b908aad:
	.byte	0                               ; 0x0
	.size	__hip_cuid_8d6902352b908aad, 1

	.ident	"AMD clang version 19.0.0git (https://github.com/RadeonOpenCompute/llvm-project roc-6.4.0 25133 c7fe45cf4b819c5991fe208aaa96edf142730f1d)"
	.section	".note.GNU-stack","",@progbits
	.addrsig
	.addrsig_sym __hip_cuid_8d6902352b908aad
	.amdgpu_metadata
---
amdhsa.kernels:
  - .agpr_count:     0
    .args:
      - .actual_access:  read_only
        .address_space:  global
        .offset:         0
        .size:           8
        .value_kind:     global_buffer
      - .offset:         8
        .size:           8
        .value_kind:     by_value
      - .actual_access:  read_only
        .address_space:  global
        .offset:         16
        .size:           8
        .value_kind:     global_buffer
      - .actual_access:  read_only
        .address_space:  global
        .offset:         24
        .size:           8
        .value_kind:     global_buffer
      - .actual_access:  read_only
        .address_space:  global
        .offset:         32
        .size:           8
        .value_kind:     global_buffer
      - .offset:         40
        .size:           8
        .value_kind:     by_value
      - .actual_access:  read_only
        .address_space:  global
        .offset:         48
        .size:           8
        .value_kind:     global_buffer
      - .actual_access:  read_only
        .address_space:  global
        .offset:         56
        .size:           8
        .value_kind:     global_buffer
      - .offset:         64
        .size:           4
        .value_kind:     by_value
      - .actual_access:  read_only
        .address_space:  global
        .offset:         72
        .size:           8
        .value_kind:     global_buffer
      - .actual_access:  read_only
        .address_space:  global
        .offset:         80
        .size:           8
        .value_kind:     global_buffer
      - .actual_access:  read_only
        .address_space:  global
        .offset:         88
        .size:           8
        .value_kind:     global_buffer
      - .actual_access:  write_only
        .address_space:  global
        .offset:         96
        .size:           8
        .value_kind:     global_buffer
    .group_segment_fixed_size: 0
    .kernarg_segment_align: 8
    .kernarg_segment_size: 104
    .language:       OpenCL C
    .language_version:
      - 2
      - 0
    .max_flat_workgroup_size: 245
    .name:           fft_rtc_fwd_len343_factors_7_7_7_wgs_245_tpt_49_sp_op_CI_CI_sbrc_z_xy_aligned
    .private_segment_fixed_size: 0
    .sgpr_count:     37
    .sgpr_spill_count: 0
    .symbol:         fft_rtc_fwd_len343_factors_7_7_7_wgs_245_tpt_49_sp_op_CI_CI_sbrc_z_xy_aligned.kd
    .uniform_work_group_size: 1
    .uses_dynamic_stack: false
    .vgpr_count:     46
    .vgpr_spill_count: 0
    .wavefront_size: 64
amdhsa.target:   amdgcn-amd-amdhsa--gfx950
amdhsa.version:
  - 1
  - 2
...

	.end_amdgpu_metadata
